;; amdgpu-corpus repo=zjin-lcf/HeCBench kind=compiled arch=gfx1250 opt=O3
	.amdgcn_target "amdgcn-amd-amdhsa--gfx1250"
	.amdhsa_code_object_version 6
	.section	.text._Z9kernel_BSIfEvPKT_S2_Pmmm,"axG",@progbits,_Z9kernel_BSIfEvPKT_S2_Pmmm,comdat
	.protected	_Z9kernel_BSIfEvPKT_S2_Pmmm ; -- Begin function _Z9kernel_BSIfEvPKT_S2_Pmmm
	.globl	_Z9kernel_BSIfEvPKT_S2_Pmmm
	.p2align	8
	.type	_Z9kernel_BSIfEvPKT_S2_Pmmm,@function
_Z9kernel_BSIfEvPKT_S2_Pmmm:            ; @_Z9kernel_BSIfEvPKT_S2_Pmmm
; %bb.0:
	s_clause 0x1
	s_load_b32 s2, s[0:1], 0x34
	s_load_b128 s[8:11], s[0:1], 0x18
	s_bfe_u32 s3, ttmp6, 0x4000c
	s_and_b32 s4, ttmp6, 15
	s_add_co_i32 s3, s3, 1
	s_getreg_b32 s5, hwreg(HW_REG_IB_STS2, 6, 4)
	s_mul_i32 s3, ttmp9, s3
	v_mov_b32_e32 v1, 0
	s_add_co_i32 s4, s4, s3
	s_wait_kmcnt 0x0
	s_and_b32 s2, s2, 0xffff
	s_cmp_eq_u32 s5, 0
	s_cselect_b32 s3, ttmp9, s4
	s_delay_alu instid0(SALU_CYCLE_1) | instskip(SKIP_1) | instid1(VALU_DEP_1)
	v_mad_u32 v0, s3, s2, v0
	s_mov_b32 s2, exec_lo
	v_cmpx_gt_u64_e64 s[8:9], v[0:1]
	s_cbranch_execz .LBB0_6
; %bb.1:
	v_cmp_lt_u64_e64 s2, s[10:11], 2
	v_mov_b64_e32 v[2:3], 0
	s_and_b32 vcc_lo, exec_lo, s2
	s_cbranch_vccnz .LBB0_5
; %bb.2:
	s_load_b128 s[4:7], s[0:1], 0x0
	v_mov_b64_e32 v[6:7], s[10:11]
	v_mov_b64_e32 v[4:5], s[10:11]
	s_mov_b32 s2, 0
	s_wait_kmcnt 0x0
	v_lshl_add_u64 v[2:3], v[0:1], 2, s[6:7]
	global_load_b32 v8, v[2:3], off
	s_wait_xcnt 0x0
	v_mov_b64_e32 v[2:3], 0
.LBB0_3:                                ; =>This Inner Loop Header: Depth=1
	v_lshrrev_b64 v[6:7], 1, v[6:7]
	s_delay_alu instid0(VALU_DEP_1) | instskip(NEXT) | instid1(VALU_DEP_1)
	v_add_nc_u64_e32 v[6:7], v[6:7], v[2:3]
	v_lshl_add_u64 v[10:11], v[6:7], 2, s[4:5]
	global_load_b32 v9, v[10:11], off
	s_wait_loadcnt 0x0
	v_cmp_lt_f32_e32 vcc_lo, v8, v9
	v_dual_cndmask_b32 v3, v7, v3 :: v_dual_cndmask_b32 v2, v6, v2
	v_dual_cndmask_b32 v5, v5, v7 :: v_dual_cndmask_b32 v4, v4, v6
	s_delay_alu instid0(VALU_DEP_1) | instskip(NEXT) | instid1(VALU_DEP_1)
	v_sub_nc_u64_e32 v[6:7], v[4:5], v[2:3]
	v_cmp_gt_u64_e32 vcc_lo, 2, v[6:7]
	s_or_b32 s2, vcc_lo, s2
	s_delay_alu instid0(SALU_CYCLE_1)
	s_and_not1_b32 exec_lo, exec_lo, s2
	s_cbranch_execnz .LBB0_3
; %bb.4:
	s_or_b32 exec_lo, exec_lo, s2
.LBB0_5:
	s_load_b64 s[0:1], s[0:1], 0x10
	s_wait_kmcnt 0x0
	v_lshl_add_u64 v[0:1], v[0:1], 3, s[0:1]
	global_store_b64 v[0:1], v[2:3], off
.LBB0_6:
	s_endpgm
	.section	.rodata,"a",@progbits
	.p2align	6, 0x0
	.amdhsa_kernel _Z9kernel_BSIfEvPKT_S2_Pmmm
		.amdhsa_group_segment_fixed_size 0
		.amdhsa_private_segment_fixed_size 0
		.amdhsa_kernarg_size 296
		.amdhsa_user_sgpr_count 2
		.amdhsa_user_sgpr_dispatch_ptr 0
		.amdhsa_user_sgpr_queue_ptr 0
		.amdhsa_user_sgpr_kernarg_segment_ptr 1
		.amdhsa_user_sgpr_dispatch_id 0
		.amdhsa_user_sgpr_kernarg_preload_length 0
		.amdhsa_user_sgpr_kernarg_preload_offset 0
		.amdhsa_user_sgpr_private_segment_size 0
		.amdhsa_wavefront_size32 1
		.amdhsa_uses_dynamic_stack 0
		.amdhsa_enable_private_segment 0
		.amdhsa_system_sgpr_workgroup_id_x 1
		.amdhsa_system_sgpr_workgroup_id_y 0
		.amdhsa_system_sgpr_workgroup_id_z 0
		.amdhsa_system_sgpr_workgroup_info 0
		.amdhsa_system_vgpr_workitem_id 0
		.amdhsa_next_free_vgpr 12
		.amdhsa_next_free_sgpr 12
		.amdhsa_named_barrier_count 0
		.amdhsa_reserve_vcc 1
		.amdhsa_float_round_mode_32 0
		.amdhsa_float_round_mode_16_64 0
		.amdhsa_float_denorm_mode_32 3
		.amdhsa_float_denorm_mode_16_64 3
		.amdhsa_fp16_overflow 0
		.amdhsa_memory_ordered 1
		.amdhsa_forward_progress 1
		.amdhsa_inst_pref_size 3
		.amdhsa_round_robin_scheduling 0
		.amdhsa_exception_fp_ieee_invalid_op 0
		.amdhsa_exception_fp_denorm_src 0
		.amdhsa_exception_fp_ieee_div_zero 0
		.amdhsa_exception_fp_ieee_overflow 0
		.amdhsa_exception_fp_ieee_underflow 0
		.amdhsa_exception_fp_ieee_inexact 0
		.amdhsa_exception_int_div_zero 0
	.end_amdhsa_kernel
	.section	.text._Z9kernel_BSIfEvPKT_S2_Pmmm,"axG",@progbits,_Z9kernel_BSIfEvPKT_S2_Pmmm,comdat
.Lfunc_end0:
	.size	_Z9kernel_BSIfEvPKT_S2_Pmmm, .Lfunc_end0-_Z9kernel_BSIfEvPKT_S2_Pmmm
                                        ; -- End function
	.set _Z9kernel_BSIfEvPKT_S2_Pmmm.num_vgpr, 12
	.set _Z9kernel_BSIfEvPKT_S2_Pmmm.num_agpr, 0
	.set _Z9kernel_BSIfEvPKT_S2_Pmmm.numbered_sgpr, 12
	.set _Z9kernel_BSIfEvPKT_S2_Pmmm.num_named_barrier, 0
	.set _Z9kernel_BSIfEvPKT_S2_Pmmm.private_seg_size, 0
	.set _Z9kernel_BSIfEvPKT_S2_Pmmm.uses_vcc, 1
	.set _Z9kernel_BSIfEvPKT_S2_Pmmm.uses_flat_scratch, 0
	.set _Z9kernel_BSIfEvPKT_S2_Pmmm.has_dyn_sized_stack, 0
	.set _Z9kernel_BSIfEvPKT_S2_Pmmm.has_recursion, 0
	.set _Z9kernel_BSIfEvPKT_S2_Pmmm.has_indirect_call, 0
	.section	.AMDGPU.csdata,"",@progbits
; Kernel info:
; codeLenInByte = 300
; TotalNumSgprs: 14
; NumVgprs: 12
; ScratchSize: 0
; MemoryBound: 0
; FloatMode: 240
; IeeeMode: 1
; LDSByteSize: 0 bytes/workgroup (compile time only)
; SGPRBlocks: 0
; VGPRBlocks: 0
; NumSGPRsForWavesPerEU: 14
; NumVGPRsForWavesPerEU: 12
; NamedBarCnt: 0
; Occupancy: 16
; WaveLimiterHint : 0
; COMPUTE_PGM_RSRC2:SCRATCH_EN: 0
; COMPUTE_PGM_RSRC2:USER_SGPR: 2
; COMPUTE_PGM_RSRC2:TRAP_HANDLER: 0
; COMPUTE_PGM_RSRC2:TGID_X_EN: 1
; COMPUTE_PGM_RSRC2:TGID_Y_EN: 0
; COMPUTE_PGM_RSRC2:TGID_Z_EN: 0
; COMPUTE_PGM_RSRC2:TIDIG_COMP_CNT: 0
	.section	.text._Z10kernel_BS2IfEvPKT_S2_Pmmm,"axG",@progbits,_Z10kernel_BS2IfEvPKT_S2_Pmmm,comdat
	.protected	_Z10kernel_BS2IfEvPKT_S2_Pmmm ; -- Begin function _Z10kernel_BS2IfEvPKT_S2_Pmmm
	.globl	_Z10kernel_BS2IfEvPKT_S2_Pmmm
	.p2align	8
	.type	_Z10kernel_BS2IfEvPKT_S2_Pmmm,@function
_Z10kernel_BS2IfEvPKT_S2_Pmmm:          ; @_Z10kernel_BS2IfEvPKT_S2_Pmmm
; %bb.0:
	s_clause 0x1
	s_load_b32 s2, s[0:1], 0x34
	s_load_b128 s[4:7], s[0:1], 0x18
	s_bfe_u32 s3, ttmp6, 0x4000c
	s_and_b32 s8, ttmp6, 15
	s_add_co_i32 s3, s3, 1
	s_getreg_b32 s9, hwreg(HW_REG_IB_STS2, 6, 4)
	s_mul_i32 s3, ttmp9, s3
	v_mov_b32_e32 v1, 0
	s_add_co_i32 s8, s8, s3
	s_wait_kmcnt 0x0
	s_and_b32 s2, s2, 0xffff
	s_cmp_eq_u32 s9, 0
	s_cselect_b32 s3, ttmp9, s8
	s_delay_alu instid0(SALU_CYCLE_1) | instskip(SKIP_1) | instid1(VALU_DEP_1)
	v_mad_u32 v0, s3, s2, v0
	s_mov_b32 s2, exec_lo
	v_cmpx_gt_u64_e64 s[4:5], v[0:1]
	s_cbranch_execz .LBB1_11
; %bb.1:
	s_clause 0x1
	s_load_b128 s[8:11], s[0:1], 0x0
	s_load_b64 s[2:3], s[0:1], 0x10
	s_wait_xcnt 0x0
	s_mov_b32 s0, -1
.LBB1_2:                                ; =>This Inner Loop Header: Depth=1
	s_delay_alu instid0(SALU_CYCLE_1) | instskip(SKIP_1) | instid1(SALU_CYCLE_1)
	s_mov_b32 s4, s0
	s_add_co_i32 s0, s0, 1
	s_lshr_b64 s[12:13], s[6:7], s0
	s_delay_alu instid0(SALU_CYCLE_1)
	s_cmp_lg_u64 s[12:13], 0
	s_cbranch_scc1 .LBB1_2
; %bb.3:
	s_wait_kmcnt 0x0
	v_lshl_add_u64 v[2:3], v[0:1], 2, s[10:11]
	s_lshl_b64 s[0:1], 1, s4
	s_delay_alu instid0(SALU_CYCLE_1)
	s_lshl_b64 s[10:11], s[0:1], 2
	s_cmp_eq_u32 s4, 0
	global_load_b32 v6, v[2:3], off
	s_add_nc_u64 s[10:11], s[8:9], s[10:11]
	s_load_b32 s5, s[10:11], 0x0
	s_wait_loadcnt 0x0
	s_wait_kmcnt 0x0
	v_cmp_le_f32_e32 vcc_lo, s5, v6
	v_cndmask_b32_e64 v3, 0, s1, vcc_lo
	v_cndmask_b32_e64 v2, 0, s0, vcc_lo
	s_cbranch_scc1 .LBB1_10
.LBB1_4:                                ; =>This Inner Loop Header: Depth=1
	s_lshr_b64 s[4:5], s[0:1], 1
	s_mov_b32 s10, exec_lo
	v_or_b32_e32 v5, s5, v3
	v_or_b32_e32 v4, s4, v2
	s_delay_alu instid0(VALU_DEP_1)
	v_cmpx_gt_u64_e64 s[6:7], v[4:5]
	s_cbranch_execz .LBB1_8
; %bb.5:                                ;   in Loop: Header=BB1_4 Depth=1
	v_lshl_add_u64 v[8:9], v[4:5], 2, s[8:9]
	s_mov_b32 s11, exec_lo
	global_load_b32 v7, v[8:9], off
	s_wait_loadcnt 0x0
	v_cmpx_ge_f32_e32 v6, v7
; %bb.6:                                ;   in Loop: Header=BB1_4 Depth=1
	v_mov_b64_e32 v[2:3], v[4:5]
; %bb.7:                                ;   in Loop: Header=BB1_4 Depth=1
	s_or_b32 exec_lo, exec_lo, s11
.LBB1_8:                                ;   in Loop: Header=BB1_4 Depth=1
	s_delay_alu instid0(SALU_CYCLE_1)
	s_or_b32 exec_lo, exec_lo, s10
	v_cmp_gt_u64_e64 s0, s[0:1], 3
	s_and_b32 vcc_lo, exec_lo, s0
	s_cbranch_vccz .LBB1_10
; %bb.9:                                ;   in Loop: Header=BB1_4 Depth=1
	s_mov_b64 s[0:1], s[4:5]
	s_branch .LBB1_4
.LBB1_10:
	v_lshl_add_u64 v[0:1], v[0:1], 3, s[2:3]
	global_store_b64 v[0:1], v[2:3], off
.LBB1_11:
	s_endpgm
	.section	.rodata,"a",@progbits
	.p2align	6, 0x0
	.amdhsa_kernel _Z10kernel_BS2IfEvPKT_S2_Pmmm
		.amdhsa_group_segment_fixed_size 0
		.amdhsa_private_segment_fixed_size 0
		.amdhsa_kernarg_size 296
		.amdhsa_user_sgpr_count 2
		.amdhsa_user_sgpr_dispatch_ptr 0
		.amdhsa_user_sgpr_queue_ptr 0
		.amdhsa_user_sgpr_kernarg_segment_ptr 1
		.amdhsa_user_sgpr_dispatch_id 0
		.amdhsa_user_sgpr_kernarg_preload_length 0
		.amdhsa_user_sgpr_kernarg_preload_offset 0
		.amdhsa_user_sgpr_private_segment_size 0
		.amdhsa_wavefront_size32 1
		.amdhsa_uses_dynamic_stack 0
		.amdhsa_enable_private_segment 0
		.amdhsa_system_sgpr_workgroup_id_x 1
		.amdhsa_system_sgpr_workgroup_id_y 0
		.amdhsa_system_sgpr_workgroup_id_z 0
		.amdhsa_system_sgpr_workgroup_info 0
		.amdhsa_system_vgpr_workitem_id 0
		.amdhsa_next_free_vgpr 10
		.amdhsa_next_free_sgpr 14
		.amdhsa_named_barrier_count 0
		.amdhsa_reserve_vcc 1
		.amdhsa_float_round_mode_32 0
		.amdhsa_float_round_mode_16_64 0
		.amdhsa_float_denorm_mode_32 3
		.amdhsa_float_denorm_mode_16_64 3
		.amdhsa_fp16_overflow 0
		.amdhsa_memory_ordered 1
		.amdhsa_forward_progress 1
		.amdhsa_inst_pref_size 3
		.amdhsa_round_robin_scheduling 0
		.amdhsa_exception_fp_ieee_invalid_op 0
		.amdhsa_exception_fp_denorm_src 0
		.amdhsa_exception_fp_ieee_div_zero 0
		.amdhsa_exception_fp_ieee_overflow 0
		.amdhsa_exception_fp_ieee_underflow 0
		.amdhsa_exception_fp_ieee_inexact 0
		.amdhsa_exception_int_div_zero 0
	.end_amdhsa_kernel
	.section	.text._Z10kernel_BS2IfEvPKT_S2_Pmmm,"axG",@progbits,_Z10kernel_BS2IfEvPKT_S2_Pmmm,comdat
.Lfunc_end1:
	.size	_Z10kernel_BS2IfEvPKT_S2_Pmmm, .Lfunc_end1-_Z10kernel_BS2IfEvPKT_S2_Pmmm
                                        ; -- End function
	.set _Z10kernel_BS2IfEvPKT_S2_Pmmm.num_vgpr, 10
	.set _Z10kernel_BS2IfEvPKT_S2_Pmmm.num_agpr, 0
	.set _Z10kernel_BS2IfEvPKT_S2_Pmmm.numbered_sgpr, 14
	.set _Z10kernel_BS2IfEvPKT_S2_Pmmm.num_named_barrier, 0
	.set _Z10kernel_BS2IfEvPKT_S2_Pmmm.private_seg_size, 0
	.set _Z10kernel_BS2IfEvPKT_S2_Pmmm.uses_vcc, 1
	.set _Z10kernel_BS2IfEvPKT_S2_Pmmm.uses_flat_scratch, 0
	.set _Z10kernel_BS2IfEvPKT_S2_Pmmm.has_dyn_sized_stack, 0
	.set _Z10kernel_BS2IfEvPKT_S2_Pmmm.has_recursion, 0
	.set _Z10kernel_BS2IfEvPKT_S2_Pmmm.has_indirect_call, 0
	.section	.AMDGPU.csdata,"",@progbits
; Kernel info:
; codeLenInByte = 368
; TotalNumSgprs: 16
; NumVgprs: 10
; ScratchSize: 0
; MemoryBound: 0
; FloatMode: 240
; IeeeMode: 1
; LDSByteSize: 0 bytes/workgroup (compile time only)
; SGPRBlocks: 0
; VGPRBlocks: 0
; NumSGPRsForWavesPerEU: 16
; NumVGPRsForWavesPerEU: 10
; NamedBarCnt: 0
; Occupancy: 16
; WaveLimiterHint : 0
; COMPUTE_PGM_RSRC2:SCRATCH_EN: 0
; COMPUTE_PGM_RSRC2:USER_SGPR: 2
; COMPUTE_PGM_RSRC2:TRAP_HANDLER: 0
; COMPUTE_PGM_RSRC2:TGID_X_EN: 1
; COMPUTE_PGM_RSRC2:TGID_Y_EN: 0
; COMPUTE_PGM_RSRC2:TGID_Z_EN: 0
; COMPUTE_PGM_RSRC2:TIDIG_COMP_CNT: 0
	.section	.text._Z10kernel_BS3IfEvPKT_S2_Pmmm,"axG",@progbits,_Z10kernel_BS3IfEvPKT_S2_Pmmm,comdat
	.protected	_Z10kernel_BS3IfEvPKT_S2_Pmmm ; -- Begin function _Z10kernel_BS3IfEvPKT_S2_Pmmm
	.globl	_Z10kernel_BS3IfEvPKT_S2_Pmmm
	.p2align	8
	.type	_Z10kernel_BS3IfEvPKT_S2_Pmmm,@function
_Z10kernel_BS3IfEvPKT_S2_Pmmm:          ; @_Z10kernel_BS3IfEvPKT_S2_Pmmm
; %bb.0:
	s_clause 0x1
	s_load_b32 s2, s[0:1], 0x34
	s_load_b128 s[4:7], s[0:1], 0x18
	s_bfe_u32 s3, ttmp6, 0x4000c
	s_and_b32 s8, ttmp6, 15
	s_add_co_i32 s3, s3, 1
	s_getreg_b32 s9, hwreg(HW_REG_IB_STS2, 6, 4)
	s_mul_i32 s3, ttmp9, s3
	v_mov_b32_e32 v1, 0
	s_add_co_i32 s8, s8, s3
	s_wait_kmcnt 0x0
	s_and_b32 s2, s2, 0xffff
	s_cmp_eq_u32 s9, 0
	s_cselect_b32 s3, ttmp9, s8
	s_delay_alu instid0(SALU_CYCLE_1) | instskip(SKIP_1) | instid1(VALU_DEP_1)
	v_mad_u32 v0, s3, s2, v0
	s_mov_b32 s2, exec_lo
	v_cmpx_gt_u64_e64 s[4:5], v[0:1]
	s_cbranch_execz .LBB2_6
; %bb.1:
	s_clause 0x1
	s_load_b128 s[8:11], s[0:1], 0x0
	s_load_b64 s[2:3], s[0:1], 0x10
	s_wait_xcnt 0x0
	s_mov_b32 s1, -1
.LBB2_2:                                ; =>This Inner Loop Header: Depth=1
	s_delay_alu instid0(SALU_CYCLE_1) | instskip(SKIP_1) | instid1(SALU_CYCLE_1)
	s_mov_b32 s0, s1
	s_add_co_i32 s1, s1, 1
	s_lshr_b64 s[4:5], s[6:7], s1
	s_delay_alu instid0(SALU_CYCLE_1)
	s_cmp_lg_u64 s[4:5], 0
	s_cbranch_scc1 .LBB2_2
; %bb.3:
	s_wait_kmcnt 0x0
	v_lshl_add_u64 v[2:3], v[0:1], 2, s[10:11]
	s_lshl_b64 s[4:5], 1, s0
	s_delay_alu instid0(SALU_CYCLE_1)
	s_lshl_b64 s[10:11], s[4:5], 2
	s_cmp_eq_u32 s0, 0
	global_load_b32 v4, v[2:3], off
	s_add_nc_u64 s[10:11], s[8:9], s[10:11]
	s_load_b32 s1, s[10:11], 0x0
	s_wait_loadcnt 0x0
	s_wait_kmcnt 0x0
	v_cmp_le_f32_e32 vcc_lo, s1, v4
	v_cndmask_b32_e64 v3, 0, s5, vcc_lo
	v_cndmask_b32_e64 v2, 0, s4, vcc_lo
	s_cbranch_scc1 .LBB2_5
.LBB2_4:                                ; =>This Inner Loop Header: Depth=1
	s_lshr_b64 s[10:11], s[4:5], 1
	v_cmp_gt_u64_e64 s0, s[4:5], 3
	s_delay_alu instid0(VALU_DEP_2) | instskip(SKIP_2) | instid1(VALU_DEP_1)
	v_or_b32_e32 v6, s10, v2
	v_or_b32_e32 v7, s11, v3
	s_mov_b64 s[4:5], s[10:11]
	v_min_u64 v[8:9], v[6:7], s[6:7]
	s_and_b32 s0, exec_lo, s0
	s_delay_alu instid0(VALU_DEP_1)
	v_lshl_add_u64 v[8:9], v[8:9], 2, s[8:9]
	global_load_b32 v5, v[8:9], off
	s_wait_loadcnt 0x0
	v_cmp_nge_f32_e32 vcc_lo, v4, v5
	v_dual_cndmask_b32 v2, v6, v2 :: v_dual_cndmask_b32 v3, v7, v3
	s_mov_b32 vcc_lo, s0
	s_cbranch_vccnz .LBB2_4
.LBB2_5:
	v_lshl_add_u64 v[0:1], v[0:1], 3, s[2:3]
	global_store_b64 v[0:1], v[2:3], off
.LBB2_6:
	s_endpgm
	.section	.rodata,"a",@progbits
	.p2align	6, 0x0
	.amdhsa_kernel _Z10kernel_BS3IfEvPKT_S2_Pmmm
		.amdhsa_group_segment_fixed_size 0
		.amdhsa_private_segment_fixed_size 0
		.amdhsa_kernarg_size 296
		.amdhsa_user_sgpr_count 2
		.amdhsa_user_sgpr_dispatch_ptr 0
		.amdhsa_user_sgpr_queue_ptr 0
		.amdhsa_user_sgpr_kernarg_segment_ptr 1
		.amdhsa_user_sgpr_dispatch_id 0
		.amdhsa_user_sgpr_kernarg_preload_length 0
		.amdhsa_user_sgpr_kernarg_preload_offset 0
		.amdhsa_user_sgpr_private_segment_size 0
		.amdhsa_wavefront_size32 1
		.amdhsa_uses_dynamic_stack 0
		.amdhsa_enable_private_segment 0
		.amdhsa_system_sgpr_workgroup_id_x 1
		.amdhsa_system_sgpr_workgroup_id_y 0
		.amdhsa_system_sgpr_workgroup_id_z 0
		.amdhsa_system_sgpr_workgroup_info 0
		.amdhsa_system_vgpr_workitem_id 0
		.amdhsa_next_free_vgpr 10
		.amdhsa_next_free_sgpr 12
		.amdhsa_named_barrier_count 0
		.amdhsa_reserve_vcc 1
		.amdhsa_float_round_mode_32 0
		.amdhsa_float_round_mode_16_64 0
		.amdhsa_float_denorm_mode_32 3
		.amdhsa_float_denorm_mode_16_64 3
		.amdhsa_fp16_overflow 0
		.amdhsa_memory_ordered 1
		.amdhsa_forward_progress 1
		.amdhsa_inst_pref_size 3
		.amdhsa_round_robin_scheduling 0
		.amdhsa_exception_fp_ieee_invalid_op 0
		.amdhsa_exception_fp_denorm_src 0
		.amdhsa_exception_fp_ieee_div_zero 0
		.amdhsa_exception_fp_ieee_overflow 0
		.amdhsa_exception_fp_ieee_underflow 0
		.amdhsa_exception_fp_ieee_inexact 0
		.amdhsa_exception_int_div_zero 0
	.end_amdhsa_kernel
	.section	.text._Z10kernel_BS3IfEvPKT_S2_Pmmm,"axG",@progbits,_Z10kernel_BS3IfEvPKT_S2_Pmmm,comdat
.Lfunc_end2:
	.size	_Z10kernel_BS3IfEvPKT_S2_Pmmm, .Lfunc_end2-_Z10kernel_BS3IfEvPKT_S2_Pmmm
                                        ; -- End function
	.set _Z10kernel_BS3IfEvPKT_S2_Pmmm.num_vgpr, 10
	.set _Z10kernel_BS3IfEvPKT_S2_Pmmm.num_agpr, 0
	.set _Z10kernel_BS3IfEvPKT_S2_Pmmm.numbered_sgpr, 12
	.set _Z10kernel_BS3IfEvPKT_S2_Pmmm.num_named_barrier, 0
	.set _Z10kernel_BS3IfEvPKT_S2_Pmmm.private_seg_size, 0
	.set _Z10kernel_BS3IfEvPKT_S2_Pmmm.uses_vcc, 1
	.set _Z10kernel_BS3IfEvPKT_S2_Pmmm.uses_flat_scratch, 0
	.set _Z10kernel_BS3IfEvPKT_S2_Pmmm.has_dyn_sized_stack, 0
	.set _Z10kernel_BS3IfEvPKT_S2_Pmmm.has_recursion, 0
	.set _Z10kernel_BS3IfEvPKT_S2_Pmmm.has_indirect_call, 0
	.section	.AMDGPU.csdata,"",@progbits
; Kernel info:
; codeLenInByte = 352
; TotalNumSgprs: 14
; NumVgprs: 10
; ScratchSize: 0
; MemoryBound: 0
; FloatMode: 240
; IeeeMode: 1
; LDSByteSize: 0 bytes/workgroup (compile time only)
; SGPRBlocks: 0
; VGPRBlocks: 0
; NumSGPRsForWavesPerEU: 14
; NumVGPRsForWavesPerEU: 10
; NamedBarCnt: 0
; Occupancy: 16
; WaveLimiterHint : 0
; COMPUTE_PGM_RSRC2:SCRATCH_EN: 0
; COMPUTE_PGM_RSRC2:USER_SGPR: 2
; COMPUTE_PGM_RSRC2:TRAP_HANDLER: 0
; COMPUTE_PGM_RSRC2:TGID_X_EN: 1
; COMPUTE_PGM_RSRC2:TGID_Y_EN: 0
; COMPUTE_PGM_RSRC2:TGID_Z_EN: 0
; COMPUTE_PGM_RSRC2:TIDIG_COMP_CNT: 0
	.section	.text._Z10kernel_BS4IfEvPKT_S2_Pmmm,"axG",@progbits,_Z10kernel_BS4IfEvPKT_S2_Pmmm,comdat
	.protected	_Z10kernel_BS4IfEvPKT_S2_Pmmm ; -- Begin function _Z10kernel_BS4IfEvPKT_S2_Pmmm
	.globl	_Z10kernel_BS4IfEvPKT_S2_Pmmm
	.p2align	8
	.type	_Z10kernel_BS4IfEvPKT_S2_Pmmm,@function
_Z10kernel_BS4IfEvPKT_S2_Pmmm:          ; @_Z10kernel_BS4IfEvPKT_S2_Pmmm
; %bb.0:
	s_clause 0x1
	s_load_b32 s2, s[0:1], 0x34
	s_load_b128 s[4:7], s[0:1], 0x18
	s_bfe_u32 s3, ttmp6, 0x4000c
	s_and_b32 s8, ttmp6, 15
	s_add_co_i32 s3, s3, 1
	s_getreg_b32 s9, hwreg(HW_REG_IB_STS2, 6, 4)
	s_mul_i32 s3, ttmp9, s3
	v_mov_b32_e32 v3, 0
	s_add_co_i32 s8, s8, s3
	s_wait_kmcnt 0x0
	s_and_b32 s2, s2, 0xffff
	s_cmp_eq_u32 s9, 0
	s_cselect_b32 s3, ttmp9, s8
	s_delay_alu instid0(SALU_CYCLE_1) | instskip(SKIP_1) | instid1(VALU_DEP_1)
	v_mad_u32 v2, s3, s2, v0
	s_mov_b32 s2, exec_lo
	v_cmpx_gt_u64_e64 s[4:5], v[2:3]
	s_cbranch_execz .LBB3_8
; %bb.1:
	s_mov_b32 s2, exec_lo
	v_cmpx_eq_u32_e32 0, v0
	s_cbranch_execz .LBB3_5
; %bb.2:
	s_mov_b32 s3, -1
.LBB3_3:                                ; =>This Inner Loop Header: Depth=1
	s_delay_alu instid0(SALU_CYCLE_1) | instskip(SKIP_1) | instid1(SALU_CYCLE_1)
	s_mov_b32 s4, s3
	s_add_co_i32 s3, s3, 1
	s_lshr_b64 s[8:9], s[6:7], s3
	s_delay_alu instid0(SALU_CYCLE_1)
	s_cmp_lg_u64 s[8:9], 0
	s_cbranch_scc1 .LBB3_3
; %bb.4:
	s_lshl_b64 s[4:5], 1, s4
	v_mov_b32_e32 v4, 0
	v_mov_b64_e32 v[0:1], s[4:5]
	ds_store_b64 v4, v[0:1]
.LBB3_5:
	s_or_b32 exec_lo, exec_lo, s2
	s_clause 0x1
	s_load_b128 s[8:11], s[0:1], 0x0
	s_load_b64 s[2:3], s[0:1], 0x10
	s_wait_dscnt 0x0
	s_barrier_signal -1
	s_barrier_wait -1
	s_wait_kmcnt 0x0
	v_lshl_add_u64 v[0:1], v[2:3], 2, s[10:11]
	global_load_b32 v6, v[0:1], off
	s_wait_xcnt 0x0
	v_mov_b32_e32 v0, 0
	ds_load_b64 v[4:5], v0
	s_wait_dscnt 0x0
	v_lshlrev_b64_e32 v[0:1], 2, v[4:5]
	v_cmp_gt_u64_e32 vcc_lo, 2, v[4:5]
	s_delay_alu instid0(VALU_DEP_2) | instskip(SKIP_1) | instid1(VALU_DEP_1)
	v_add_nc_u64_e32 v[0:1], s[8:9], v[0:1]
	s_and_b32 vcc_lo, exec_lo, vcc_lo
	v_readfirstlane_b32 s0, v0
	s_delay_alu instid0(VALU_DEP_2) | instskip(SKIP_4) | instid1(VALU_DEP_1)
	v_readfirstlane_b32 s1, v1
	s_load_b32 s0, s[0:1], 0x0
	s_wait_loadcnt 0x0
	s_wait_kmcnt 0x0
	v_cmp_le_f32_e64 s0, s0, v6
	v_dual_cndmask_b32 v1, 0, v5, s0 :: v_dual_cndmask_b32 v0, 0, v4, s0
	s_cbranch_vccnz .LBB3_7
.LBB3_6:                                ; =>This Inner Loop Header: Depth=1
	v_lshrrev_b64 v[8:9], 1, v[4:5]
	v_cmp_lt_u64_e32 vcc_lo, 3, v[4:5]
	s_delay_alu instid0(VALU_DEP_2) | instskip(NEXT) | instid1(VALU_DEP_3)
	v_or_b32_e32 v10, v0, v8
	v_or_b32_e32 v11, v1, v9
	v_mov_b64_e32 v[4:5], v[8:9]
	s_and_b32 vcc_lo, exec_lo, vcc_lo
	s_delay_alu instid0(VALU_DEP_2) | instskip(NEXT) | instid1(VALU_DEP_1)
	v_min_u64 v[12:13], v[10:11], s[6:7]
	v_lshl_add_u64 v[12:13], v[12:13], 2, s[8:9]
	global_load_b32 v7, v[12:13], off
	s_wait_loadcnt 0x0
	v_cmp_nge_f32_e64 s0, v6, v7
	s_delay_alu instid0(VALU_DEP_1)
	v_dual_cndmask_b32 v0, v10, v0, s0 :: v_dual_cndmask_b32 v1, v11, v1, s0
	s_cbranch_vccnz .LBB3_6
.LBB3_7:
	v_lshl_add_u64 v[2:3], v[2:3], 3, s[2:3]
	global_store_b64 v[2:3], v[0:1], off
.LBB3_8:
	s_endpgm
	.section	.rodata,"a",@progbits
	.p2align	6, 0x0
	.amdhsa_kernel _Z10kernel_BS4IfEvPKT_S2_Pmmm
		.amdhsa_group_segment_fixed_size 8
		.amdhsa_private_segment_fixed_size 0
		.amdhsa_kernarg_size 296
		.amdhsa_user_sgpr_count 2
		.amdhsa_user_sgpr_dispatch_ptr 0
		.amdhsa_user_sgpr_queue_ptr 0
		.amdhsa_user_sgpr_kernarg_segment_ptr 1
		.amdhsa_user_sgpr_dispatch_id 0
		.amdhsa_user_sgpr_kernarg_preload_length 0
		.amdhsa_user_sgpr_kernarg_preload_offset 0
		.amdhsa_user_sgpr_private_segment_size 0
		.amdhsa_wavefront_size32 1
		.amdhsa_uses_dynamic_stack 0
		.amdhsa_enable_private_segment 0
		.amdhsa_system_sgpr_workgroup_id_x 1
		.amdhsa_system_sgpr_workgroup_id_y 0
		.amdhsa_system_sgpr_workgroup_id_z 0
		.amdhsa_system_sgpr_workgroup_info 0
		.amdhsa_system_vgpr_workitem_id 0
		.amdhsa_next_free_vgpr 14
		.amdhsa_next_free_sgpr 12
		.amdhsa_named_barrier_count 0
		.amdhsa_reserve_vcc 1
		.amdhsa_float_round_mode_32 0
		.amdhsa_float_round_mode_16_64 0
		.amdhsa_float_denorm_mode_32 3
		.amdhsa_float_denorm_mode_16_64 3
		.amdhsa_fp16_overflow 0
		.amdhsa_memory_ordered 1
		.amdhsa_forward_progress 1
		.amdhsa_inst_pref_size 4
		.amdhsa_round_robin_scheduling 0
		.amdhsa_exception_fp_ieee_invalid_op 0
		.amdhsa_exception_fp_denorm_src 0
		.amdhsa_exception_fp_ieee_div_zero 0
		.amdhsa_exception_fp_ieee_overflow 0
		.amdhsa_exception_fp_ieee_underflow 0
		.amdhsa_exception_fp_ieee_inexact 0
		.amdhsa_exception_int_div_zero 0
	.end_amdhsa_kernel
	.section	.text._Z10kernel_BS4IfEvPKT_S2_Pmmm,"axG",@progbits,_Z10kernel_BS4IfEvPKT_S2_Pmmm,comdat
.Lfunc_end3:
	.size	_Z10kernel_BS4IfEvPKT_S2_Pmmm, .Lfunc_end3-_Z10kernel_BS4IfEvPKT_S2_Pmmm
                                        ; -- End function
	.set _Z10kernel_BS4IfEvPKT_S2_Pmmm.num_vgpr, 14
	.set _Z10kernel_BS4IfEvPKT_S2_Pmmm.num_agpr, 0
	.set _Z10kernel_BS4IfEvPKT_S2_Pmmm.numbered_sgpr, 12
	.set _Z10kernel_BS4IfEvPKT_S2_Pmmm.num_named_barrier, 0
	.set _Z10kernel_BS4IfEvPKT_S2_Pmmm.private_seg_size, 0
	.set _Z10kernel_BS4IfEvPKT_S2_Pmmm.uses_vcc, 1
	.set _Z10kernel_BS4IfEvPKT_S2_Pmmm.uses_flat_scratch, 0
	.set _Z10kernel_BS4IfEvPKT_S2_Pmmm.has_dyn_sized_stack, 0
	.set _Z10kernel_BS4IfEvPKT_S2_Pmmm.has_recursion, 0
	.set _Z10kernel_BS4IfEvPKT_S2_Pmmm.has_indirect_call, 0
	.section	.AMDGPU.csdata,"",@progbits
; Kernel info:
; codeLenInByte = 436
; TotalNumSgprs: 14
; NumVgprs: 14
; ScratchSize: 0
; MemoryBound: 0
; FloatMode: 240
; IeeeMode: 1
; LDSByteSize: 8 bytes/workgroup (compile time only)
; SGPRBlocks: 0
; VGPRBlocks: 0
; NumSGPRsForWavesPerEU: 14
; NumVGPRsForWavesPerEU: 14
; NamedBarCnt: 0
; Occupancy: 16
; WaveLimiterHint : 0
; COMPUTE_PGM_RSRC2:SCRATCH_EN: 0
; COMPUTE_PGM_RSRC2:USER_SGPR: 2
; COMPUTE_PGM_RSRC2:TRAP_HANDLER: 0
; COMPUTE_PGM_RSRC2:TGID_X_EN: 1
; COMPUTE_PGM_RSRC2:TGID_Y_EN: 0
; COMPUTE_PGM_RSRC2:TGID_Z_EN: 0
; COMPUTE_PGM_RSRC2:TIDIG_COMP_CNT: 0
	.section	.AMDGPU.gpr_maximums,"",@progbits
	.set amdgpu.max_num_vgpr, 0
	.set amdgpu.max_num_agpr, 0
	.set amdgpu.max_num_sgpr, 0
	.section	.AMDGPU.csdata,"",@progbits
	.type	__hip_cuid_9bb117b5e176032c,@object ; @__hip_cuid_9bb117b5e176032c
	.section	.bss,"aw",@nobits
	.globl	__hip_cuid_9bb117b5e176032c
__hip_cuid_9bb117b5e176032c:
	.byte	0                               ; 0x0
	.size	__hip_cuid_9bb117b5e176032c, 1

	.ident	"AMD clang version 22.0.0git (https://github.com/RadeonOpenCompute/llvm-project roc-7.2.4 26084 f58b06dce1f9c15707c5f808fd002e18c2accf7e)"
	.section	".note.GNU-stack","",@progbits
	.addrsig
	.addrsig_sym __hip_cuid_9bb117b5e176032c
	.amdgpu_metadata
---
amdhsa.kernels:
  - .args:
      - .actual_access:  read_only
        .address_space:  global
        .offset:         0
        .size:           8
        .value_kind:     global_buffer
      - .actual_access:  read_only
        .address_space:  global
        .offset:         8
        .size:           8
        .value_kind:     global_buffer
      - .actual_access:  write_only
        .address_space:  global
        .offset:         16
        .size:           8
        .value_kind:     global_buffer
      - .offset:         24
        .size:           8
        .value_kind:     by_value
      - .offset:         32
        .size:           8
        .value_kind:     by_value
      - .offset:         40
        .size:           4
        .value_kind:     hidden_block_count_x
      - .offset:         44
        .size:           4
        .value_kind:     hidden_block_count_y
      - .offset:         48
        .size:           4
        .value_kind:     hidden_block_count_z
      - .offset:         52
        .size:           2
        .value_kind:     hidden_group_size_x
      - .offset:         54
        .size:           2
        .value_kind:     hidden_group_size_y
      - .offset:         56
        .size:           2
        .value_kind:     hidden_group_size_z
      - .offset:         58
        .size:           2
        .value_kind:     hidden_remainder_x
      - .offset:         60
        .size:           2
        .value_kind:     hidden_remainder_y
      - .offset:         62
        .size:           2
        .value_kind:     hidden_remainder_z
      - .offset:         80
        .size:           8
        .value_kind:     hidden_global_offset_x
      - .offset:         88
        .size:           8
        .value_kind:     hidden_global_offset_y
      - .offset:         96
        .size:           8
        .value_kind:     hidden_global_offset_z
      - .offset:         104
        .size:           2
        .value_kind:     hidden_grid_dims
    .group_segment_fixed_size: 0
    .kernarg_segment_align: 8
    .kernarg_segment_size: 296
    .language:       OpenCL C
    .language_version:
      - 2
      - 0
    .max_flat_workgroup_size: 1024
    .name:           _Z9kernel_BSIfEvPKT_S2_Pmmm
    .private_segment_fixed_size: 0
    .sgpr_count:     14
    .sgpr_spill_count: 0
    .symbol:         _Z9kernel_BSIfEvPKT_S2_Pmmm.kd
    .uniform_work_group_size: 1
    .uses_dynamic_stack: false
    .vgpr_count:     12
    .vgpr_spill_count: 0
    .wavefront_size: 32
  - .args:
      - .actual_access:  read_only
        .address_space:  global
        .offset:         0
        .size:           8
        .value_kind:     global_buffer
      - .actual_access:  read_only
        .address_space:  global
        .offset:         8
        .size:           8
        .value_kind:     global_buffer
      - .actual_access:  write_only
        .address_space:  global
        .offset:         16
        .size:           8
        .value_kind:     global_buffer
      - .offset:         24
        .size:           8
        .value_kind:     by_value
      - .offset:         32
        .size:           8
        .value_kind:     by_value
      - .offset:         40
        .size:           4
        .value_kind:     hidden_block_count_x
      - .offset:         44
        .size:           4
        .value_kind:     hidden_block_count_y
      - .offset:         48
        .size:           4
        .value_kind:     hidden_block_count_z
      - .offset:         52
        .size:           2
        .value_kind:     hidden_group_size_x
      - .offset:         54
        .size:           2
        .value_kind:     hidden_group_size_y
      - .offset:         56
        .size:           2
        .value_kind:     hidden_group_size_z
      - .offset:         58
        .size:           2
        .value_kind:     hidden_remainder_x
      - .offset:         60
        .size:           2
        .value_kind:     hidden_remainder_y
      - .offset:         62
        .size:           2
        .value_kind:     hidden_remainder_z
      - .offset:         80
        .size:           8
        .value_kind:     hidden_global_offset_x
      - .offset:         88
        .size:           8
        .value_kind:     hidden_global_offset_y
      - .offset:         96
        .size:           8
        .value_kind:     hidden_global_offset_z
      - .offset:         104
        .size:           2
        .value_kind:     hidden_grid_dims
    .group_segment_fixed_size: 0
    .kernarg_segment_align: 8
    .kernarg_segment_size: 296
    .language:       OpenCL C
    .language_version:
      - 2
      - 0
    .max_flat_workgroup_size: 1024
    .name:           _Z10kernel_BS2IfEvPKT_S2_Pmmm
    .private_segment_fixed_size: 0
    .sgpr_count:     16
    .sgpr_spill_count: 0
    .symbol:         _Z10kernel_BS2IfEvPKT_S2_Pmmm.kd
    .uniform_work_group_size: 1
    .uses_dynamic_stack: false
    .vgpr_count:     10
    .vgpr_spill_count: 0
    .wavefront_size: 32
  - .args:
      - .actual_access:  read_only
        .address_space:  global
        .offset:         0
        .size:           8
        .value_kind:     global_buffer
      - .actual_access:  read_only
        .address_space:  global
        .offset:         8
        .size:           8
        .value_kind:     global_buffer
      - .actual_access:  write_only
        .address_space:  global
        .offset:         16
        .size:           8
        .value_kind:     global_buffer
      - .offset:         24
        .size:           8
        .value_kind:     by_value
      - .offset:         32
        .size:           8
        .value_kind:     by_value
      - .offset:         40
        .size:           4
        .value_kind:     hidden_block_count_x
      - .offset:         44
        .size:           4
        .value_kind:     hidden_block_count_y
      - .offset:         48
        .size:           4
        .value_kind:     hidden_block_count_z
      - .offset:         52
        .size:           2
        .value_kind:     hidden_group_size_x
      - .offset:         54
        .size:           2
        .value_kind:     hidden_group_size_y
      - .offset:         56
        .size:           2
        .value_kind:     hidden_group_size_z
      - .offset:         58
        .size:           2
        .value_kind:     hidden_remainder_x
      - .offset:         60
        .size:           2
        .value_kind:     hidden_remainder_y
      - .offset:         62
        .size:           2
        .value_kind:     hidden_remainder_z
      - .offset:         80
        .size:           8
        .value_kind:     hidden_global_offset_x
      - .offset:         88
        .size:           8
        .value_kind:     hidden_global_offset_y
      - .offset:         96
        .size:           8
        .value_kind:     hidden_global_offset_z
      - .offset:         104
        .size:           2
        .value_kind:     hidden_grid_dims
    .group_segment_fixed_size: 0
    .kernarg_segment_align: 8
    .kernarg_segment_size: 296
    .language:       OpenCL C
    .language_version:
      - 2
      - 0
    .max_flat_workgroup_size: 1024
    .name:           _Z10kernel_BS3IfEvPKT_S2_Pmmm
    .private_segment_fixed_size: 0
    .sgpr_count:     14
    .sgpr_spill_count: 0
    .symbol:         _Z10kernel_BS3IfEvPKT_S2_Pmmm.kd
    .uniform_work_group_size: 1
    .uses_dynamic_stack: false
    .vgpr_count:     10
    .vgpr_spill_count: 0
    .wavefront_size: 32
  - .args:
      - .actual_access:  read_only
        .address_space:  global
        .offset:         0
        .size:           8
        .value_kind:     global_buffer
      - .actual_access:  read_only
        .address_space:  global
        .offset:         8
        .size:           8
        .value_kind:     global_buffer
      - .actual_access:  write_only
        .address_space:  global
        .offset:         16
        .size:           8
        .value_kind:     global_buffer
      - .offset:         24
        .size:           8
        .value_kind:     by_value
      - .offset:         32
        .size:           8
        .value_kind:     by_value
      - .offset:         40
        .size:           4
        .value_kind:     hidden_block_count_x
      - .offset:         44
        .size:           4
        .value_kind:     hidden_block_count_y
      - .offset:         48
        .size:           4
        .value_kind:     hidden_block_count_z
      - .offset:         52
        .size:           2
        .value_kind:     hidden_group_size_x
      - .offset:         54
        .size:           2
        .value_kind:     hidden_group_size_y
      - .offset:         56
        .size:           2
        .value_kind:     hidden_group_size_z
      - .offset:         58
        .size:           2
        .value_kind:     hidden_remainder_x
      - .offset:         60
        .size:           2
        .value_kind:     hidden_remainder_y
      - .offset:         62
        .size:           2
        .value_kind:     hidden_remainder_z
      - .offset:         80
        .size:           8
        .value_kind:     hidden_global_offset_x
      - .offset:         88
        .size:           8
        .value_kind:     hidden_global_offset_y
      - .offset:         96
        .size:           8
        .value_kind:     hidden_global_offset_z
      - .offset:         104
        .size:           2
        .value_kind:     hidden_grid_dims
    .group_segment_fixed_size: 8
    .kernarg_segment_align: 8
    .kernarg_segment_size: 296
    .language:       OpenCL C
    .language_version:
      - 2
      - 0
    .max_flat_workgroup_size: 1024
    .name:           _Z10kernel_BS4IfEvPKT_S2_Pmmm
    .private_segment_fixed_size: 0
    .sgpr_count:     14
    .sgpr_spill_count: 0
    .symbol:         _Z10kernel_BS4IfEvPKT_S2_Pmmm.kd
    .uniform_work_group_size: 1
    .uses_dynamic_stack: false
    .vgpr_count:     14
    .vgpr_spill_count: 0
    .wavefront_size: 32
amdhsa.target:   amdgcn-amd-amdhsa--gfx1250
amdhsa.version:
  - 1
  - 2
...

	.end_amdgpu_metadata
